;; amdgpu-corpus repo=ROCm/rocFFT kind=compiled arch=gfx1030 opt=O3
	.text
	.amdgcn_target "amdgcn-amd-amdhsa--gfx1030"
	.amdhsa_code_object_version 6
	.protected	fft_rtc_fwd_len338_factors_13_2_13_wgs_52_tpt_26_halfLds_dp_op_CI_CI_unitstride_sbrr_dirReg ; -- Begin function fft_rtc_fwd_len338_factors_13_2_13_wgs_52_tpt_26_halfLds_dp_op_CI_CI_unitstride_sbrr_dirReg
	.globl	fft_rtc_fwd_len338_factors_13_2_13_wgs_52_tpt_26_halfLds_dp_op_CI_CI_unitstride_sbrr_dirReg
	.p2align	8
	.type	fft_rtc_fwd_len338_factors_13_2_13_wgs_52_tpt_26_halfLds_dp_op_CI_CI_unitstride_sbrr_dirReg,@function
fft_rtc_fwd_len338_factors_13_2_13_wgs_52_tpt_26_halfLds_dp_op_CI_CI_unitstride_sbrr_dirReg: ; @fft_rtc_fwd_len338_factors_13_2_13_wgs_52_tpt_26_halfLds_dp_op_CI_CI_unitstride_sbrr_dirReg
; %bb.0:
	s_clause 0x2
	s_load_dwordx4 s[12:15], s[4:5], 0x0
	s_load_dwordx4 s[8:11], s[4:5], 0x58
	;; [unrolled: 1-line block ×3, first 2 shown]
	v_mul_u32_u24_e32 v1, 0x9d9, v0
	v_mov_b32_e32 v4, 0
	v_mov_b32_e32 v5, 0
	v_lshrrev_b32_e32 v56, 16, v1
	v_mov_b32_e32 v1, 0
	v_lshl_add_u32 v6, s6, 1, v56
	v_mov_b32_e32 v7, v1
	s_waitcnt lgkmcnt(0)
	v_cmp_lt_u64_e64 s0, s[14:15], 2
	s_and_b32 vcc_lo, exec_lo, s0
	s_cbranch_vccnz .LBB0_8
; %bb.1:
	s_load_dwordx2 s[0:1], s[4:5], 0x10
	v_mov_b32_e32 v4, 0
	v_mov_b32_e32 v5, 0
	s_add_u32 s2, s18, 8
	s_addc_u32 s3, s19, 0
	s_add_u32 s6, s16, 8
	s_addc_u32 s7, s17, 0
	v_mov_b32_e32 v77, v5
	v_mov_b32_e32 v76, v4
	s_mov_b64 s[22:23], 1
	s_waitcnt lgkmcnt(0)
	s_add_u32 s20, s0, 8
	s_addc_u32 s21, s1, 0
.LBB0_2:                                ; =>This Inner Loop Header: Depth=1
	s_load_dwordx2 s[24:25], s[20:21], 0x0
                                        ; implicit-def: $vgpr78_vgpr79
	s_mov_b32 s0, exec_lo
	s_waitcnt lgkmcnt(0)
	v_or_b32_e32 v2, s25, v7
	v_cmpx_ne_u64_e32 0, v[1:2]
	s_xor_b32 s1, exec_lo, s0
	s_cbranch_execz .LBB0_4
; %bb.3:                                ;   in Loop: Header=BB0_2 Depth=1
	v_cvt_f32_u32_e32 v2, s24
	v_cvt_f32_u32_e32 v3, s25
	s_sub_u32 s0, 0, s24
	s_subb_u32 s26, 0, s25
	v_fmac_f32_e32 v2, 0x4f800000, v3
	v_rcp_f32_e32 v2, v2
	v_mul_f32_e32 v2, 0x5f7ffffc, v2
	v_mul_f32_e32 v3, 0x2f800000, v2
	v_trunc_f32_e32 v3, v3
	v_fmac_f32_e32 v2, 0xcf800000, v3
	v_cvt_u32_f32_e32 v3, v3
	v_cvt_u32_f32_e32 v2, v2
	v_mul_lo_u32 v8, s0, v3
	v_mul_hi_u32 v9, s0, v2
	v_mul_lo_u32 v10, s26, v2
	v_add_nc_u32_e32 v8, v9, v8
	v_mul_lo_u32 v9, s0, v2
	v_add_nc_u32_e32 v8, v8, v10
	v_mul_hi_u32 v10, v2, v9
	v_mul_lo_u32 v11, v2, v8
	v_mul_hi_u32 v12, v2, v8
	v_mul_hi_u32 v13, v3, v9
	v_mul_lo_u32 v9, v3, v9
	v_mul_hi_u32 v14, v3, v8
	v_mul_lo_u32 v8, v3, v8
	v_add_co_u32 v10, vcc_lo, v10, v11
	v_add_co_ci_u32_e32 v11, vcc_lo, 0, v12, vcc_lo
	v_add_co_u32 v9, vcc_lo, v10, v9
	v_add_co_ci_u32_e32 v9, vcc_lo, v11, v13, vcc_lo
	v_add_co_ci_u32_e32 v10, vcc_lo, 0, v14, vcc_lo
	v_add_co_u32 v8, vcc_lo, v9, v8
	v_add_co_ci_u32_e32 v9, vcc_lo, 0, v10, vcc_lo
	v_add_co_u32 v2, vcc_lo, v2, v8
	v_add_co_ci_u32_e32 v3, vcc_lo, v3, v9, vcc_lo
	v_mul_hi_u32 v8, s0, v2
	v_mul_lo_u32 v10, s26, v2
	v_mul_lo_u32 v9, s0, v3
	v_add_nc_u32_e32 v8, v8, v9
	v_mul_lo_u32 v9, s0, v2
	v_add_nc_u32_e32 v8, v8, v10
	v_mul_hi_u32 v10, v2, v9
	v_mul_lo_u32 v11, v2, v8
	v_mul_hi_u32 v12, v2, v8
	v_mul_hi_u32 v13, v3, v9
	v_mul_lo_u32 v9, v3, v9
	v_mul_hi_u32 v14, v3, v8
	v_mul_lo_u32 v8, v3, v8
	v_add_co_u32 v10, vcc_lo, v10, v11
	v_add_co_ci_u32_e32 v11, vcc_lo, 0, v12, vcc_lo
	v_add_co_u32 v9, vcc_lo, v10, v9
	v_add_co_ci_u32_e32 v9, vcc_lo, v11, v13, vcc_lo
	v_add_co_ci_u32_e32 v10, vcc_lo, 0, v14, vcc_lo
	v_add_co_u32 v8, vcc_lo, v9, v8
	v_add_co_ci_u32_e32 v9, vcc_lo, 0, v10, vcc_lo
	v_add_co_u32 v8, vcc_lo, v2, v8
	v_add_co_ci_u32_e32 v10, vcc_lo, v3, v9, vcc_lo
	v_mul_hi_u32 v12, v6, v8
	v_mad_u64_u32 v[8:9], null, v7, v8, 0
	v_mad_u64_u32 v[2:3], null, v6, v10, 0
	v_mad_u64_u32 v[10:11], null, v7, v10, 0
	v_add_co_u32 v2, vcc_lo, v12, v2
	v_add_co_ci_u32_e32 v3, vcc_lo, 0, v3, vcc_lo
	v_add_co_u32 v2, vcc_lo, v2, v8
	v_add_co_ci_u32_e32 v2, vcc_lo, v3, v9, vcc_lo
	v_add_co_ci_u32_e32 v3, vcc_lo, 0, v11, vcc_lo
	v_add_co_u32 v8, vcc_lo, v2, v10
	v_add_co_ci_u32_e32 v9, vcc_lo, 0, v3, vcc_lo
	v_mul_lo_u32 v10, s25, v8
	v_mad_u64_u32 v[2:3], null, s24, v8, 0
	v_mul_lo_u32 v11, s24, v9
	v_sub_co_u32 v2, vcc_lo, v6, v2
	v_add3_u32 v3, v3, v11, v10
	v_sub_nc_u32_e32 v10, v7, v3
	v_subrev_co_ci_u32_e64 v10, s0, s25, v10, vcc_lo
	v_add_co_u32 v11, s0, v8, 2
	v_add_co_ci_u32_e64 v12, s0, 0, v9, s0
	v_sub_co_u32 v13, s0, v2, s24
	v_sub_co_ci_u32_e32 v3, vcc_lo, v7, v3, vcc_lo
	v_subrev_co_ci_u32_e64 v10, s0, 0, v10, s0
	v_cmp_le_u32_e32 vcc_lo, s24, v13
	v_cmp_eq_u32_e64 s0, s25, v3
	v_cndmask_b32_e64 v13, 0, -1, vcc_lo
	v_cmp_le_u32_e32 vcc_lo, s25, v10
	v_cndmask_b32_e64 v14, 0, -1, vcc_lo
	v_cmp_le_u32_e32 vcc_lo, s24, v2
	;; [unrolled: 2-line block ×3, first 2 shown]
	v_cndmask_b32_e64 v15, 0, -1, vcc_lo
	v_cmp_eq_u32_e32 vcc_lo, s25, v10
	v_cndmask_b32_e64 v2, v15, v2, s0
	v_cndmask_b32_e32 v10, v14, v13, vcc_lo
	v_add_co_u32 v13, vcc_lo, v8, 1
	v_add_co_ci_u32_e32 v14, vcc_lo, 0, v9, vcc_lo
	v_cmp_ne_u32_e32 vcc_lo, 0, v10
	v_cndmask_b32_e32 v3, v14, v12, vcc_lo
	v_cndmask_b32_e32 v10, v13, v11, vcc_lo
	v_cmp_ne_u32_e32 vcc_lo, 0, v2
	v_cndmask_b32_e32 v79, v9, v3, vcc_lo
	v_cndmask_b32_e32 v78, v8, v10, vcc_lo
.LBB0_4:                                ;   in Loop: Header=BB0_2 Depth=1
	s_andn2_saveexec_b32 s0, s1
	s_cbranch_execz .LBB0_6
; %bb.5:                                ;   in Loop: Header=BB0_2 Depth=1
	v_cvt_f32_u32_e32 v2, s24
	s_sub_i32 s1, 0, s24
	v_mov_b32_e32 v79, v1
	v_rcp_iflag_f32_e32 v2, v2
	v_mul_f32_e32 v2, 0x4f7ffffe, v2
	v_cvt_u32_f32_e32 v2, v2
	v_mul_lo_u32 v3, s1, v2
	v_mul_hi_u32 v3, v2, v3
	v_add_nc_u32_e32 v2, v2, v3
	v_mul_hi_u32 v2, v6, v2
	v_mul_lo_u32 v3, v2, s24
	v_add_nc_u32_e32 v8, 1, v2
	v_sub_nc_u32_e32 v3, v6, v3
	v_subrev_nc_u32_e32 v9, s24, v3
	v_cmp_le_u32_e32 vcc_lo, s24, v3
	v_cndmask_b32_e32 v3, v3, v9, vcc_lo
	v_cndmask_b32_e32 v2, v2, v8, vcc_lo
	v_cmp_le_u32_e32 vcc_lo, s24, v3
	v_add_nc_u32_e32 v8, 1, v2
	v_cndmask_b32_e32 v78, v2, v8, vcc_lo
.LBB0_6:                                ;   in Loop: Header=BB0_2 Depth=1
	s_or_b32 exec_lo, exec_lo, s0
	v_mul_lo_u32 v8, v79, s24
	v_mul_lo_u32 v9, v78, s25
	s_load_dwordx2 s[0:1], s[6:7], 0x0
	v_mad_u64_u32 v[2:3], null, v78, s24, 0
	s_load_dwordx2 s[24:25], s[2:3], 0x0
	s_add_u32 s22, s22, 1
	s_addc_u32 s23, s23, 0
	s_add_u32 s2, s2, 8
	s_addc_u32 s3, s3, 0
	s_add_u32 s6, s6, 8
	v_add3_u32 v3, v3, v9, v8
	v_sub_co_u32 v2, vcc_lo, v6, v2
	s_addc_u32 s7, s7, 0
	s_add_u32 s20, s20, 8
	v_sub_co_ci_u32_e32 v3, vcc_lo, v7, v3, vcc_lo
	s_addc_u32 s21, s21, 0
	s_waitcnt lgkmcnt(0)
	v_mul_lo_u32 v6, s0, v3
	v_mul_lo_u32 v7, s1, v2
	v_mad_u64_u32 v[4:5], null, s0, v2, v[4:5]
	v_mul_lo_u32 v3, s24, v3
	v_mul_lo_u32 v8, s25, v2
	v_mad_u64_u32 v[76:77], null, s24, v2, v[76:77]
	v_cmp_ge_u64_e64 s0, s[22:23], s[14:15]
	v_add3_u32 v5, v7, v5, v6
	v_add3_u32 v77, v8, v77, v3
	s_and_b32 vcc_lo, exec_lo, s0
	s_cbranch_vccnz .LBB0_9
; %bb.7:                                ;   in Loop: Header=BB0_2 Depth=1
	v_mov_b32_e32 v6, v78
	v_mov_b32_e32 v7, v79
	s_branch .LBB0_2
.LBB0_8:
	v_mov_b32_e32 v77, v5
	v_mov_b32_e32 v79, v7
	;; [unrolled: 1-line block ×4, first 2 shown]
.LBB0_9:
	s_load_dwordx2 s[0:1], s[4:5], 0x28
	v_mul_hi_u32 v1, 0x9d89d8a, v0
	s_lshl_b64 s[4:5], s[14:15], 3
                                        ; implicit-def: $sgpr6_sgpr7
                                        ; implicit-def: $vgpr82
	s_add_u32 s2, s18, s4
	s_addc_u32 s3, s19, s5
	s_waitcnt lgkmcnt(0)
	v_cmp_gt_u64_e32 vcc_lo, s[0:1], v[78:79]
	v_cmp_le_u64_e64 s0, s[0:1], v[78:79]
	s_and_saveexec_b32 s1, s0
	s_xor_b32 s0, exec_lo, s1
; %bb.10:
	v_mul_u32_u24_e32 v1, 26, v1
	s_mov_b64 s[6:7], 0
                                        ; implicit-def: $vgpr4_vgpr5
	v_sub_nc_u32_e32 v82, v0, v1
                                        ; implicit-def: $vgpr1
                                        ; implicit-def: $vgpr0
; %bb.11:
	s_or_saveexec_b32 s1, s0
	v_mov_b32_e32 v81, s7
	v_mov_b32_e32 v80, s6
                                        ; implicit-def: $vgpr6_vgpr7
                                        ; implicit-def: $vgpr10_vgpr11
                                        ; implicit-def: $vgpr14_vgpr15
                                        ; implicit-def: $vgpr18_vgpr19
                                        ; implicit-def: $vgpr22_vgpr23
                                        ; implicit-def: $vgpr26_vgpr27
                                        ; implicit-def: $vgpr30_vgpr31
                                        ; implicit-def: $vgpr34_vgpr35
                                        ; implicit-def: $vgpr42_vgpr43
                                        ; implicit-def: $vgpr38_vgpr39
                                        ; implicit-def: $vgpr46_vgpr47
                                        ; implicit-def: $vgpr50_vgpr51
                                        ; implicit-def: $vgpr2_vgpr3
	s_xor_b32 exec_lo, exec_lo, s1
	s_cbranch_execz .LBB0_13
; %bb.12:
	s_add_u32 s4, s16, s4
	s_addc_u32 s5, s17, s5
	v_mov_b32_e32 v83, 0
	s_load_dwordx2 s[4:5], s[4:5], 0x0
	s_waitcnt lgkmcnt(0)
	v_mul_lo_u32 v6, s5, v78
	v_mul_lo_u32 v7, s4, v79
	v_mad_u64_u32 v[2:3], null, s4, v78, 0
	v_add3_u32 v3, v3, v7, v6
	v_mul_u32_u24_e32 v6, 26, v1
	v_lshlrev_b64 v[1:2], 4, v[2:3]
	v_lshlrev_b64 v[3:4], 4, v[4:5]
	v_sub_nc_u32_e32 v82, v0, v6
	v_add_co_u32 v0, s0, s8, v1
	v_add_co_ci_u32_e64 v1, s0, s9, v2, s0
	v_lshlrev_b32_e32 v2, 4, v82
	v_add_co_u32 v0, s0, v0, v3
	v_add_co_ci_u32_e64 v1, s0, v1, v4, s0
	v_mov_b32_e32 v80, v82
	v_add_co_u32 v4, s0, v0, v2
	v_add_co_ci_u32_e64 v5, s0, 0, v1, s0
	v_mov_b32_e32 v81, v83
	v_add_co_u32 v6, s0, 0x800, v4
	v_add_co_ci_u32_e64 v7, s0, 0, v5, s0
	v_add_co_u32 v52, s0, 0x1000, v4
	s_clause 0x3
	global_load_dwordx4 v[0:3], v[4:5], off
	global_load_dwordx4 v[48:51], v[4:5], off offset:416
	global_load_dwordx4 v[44:47], v[4:5], off offset:832
	;; [unrolled: 1-line block ×3, first 2 shown]
	v_add_co_ci_u32_e64 v53, s0, 0, v5, s0
	s_clause 0x8
	global_load_dwordx4 v[40:43], v[4:5], off offset:1664
	global_load_dwordx4 v[32:35], v[6:7], off offset:32
	;; [unrolled: 1-line block ×9, first 2 shown]
.LBB0_13:
	s_or_b32 exec_lo, exec_lo, s1
	s_waitcnt vmcnt(0)
	v_add_f64 v[54:55], v[4:5], v[48:49]
	v_add_f64 v[57:58], v[48:49], v[0:1]
	s_mov_b32 s8, 0xebaa3ed8
	s_mov_b32 s9, 0x3fbedb7d
	v_add_f64 v[52:53], v[50:51], -v[6:7]
	v_add_f64 v[59:60], v[8:9], v[44:45]
	s_mov_b32 s22, 0x66966769
	s_mov_b32 s20, 0x93053d00
	;; [unrolled: 1-line block ×4, first 2 shown]
	v_add_f64 v[61:62], v[46:47], -v[10:11]
	v_add_f64 v[67:68], v[12:13], v[36:37]
	s_mov_b32 s4, 0x1ea71119
	s_mov_b32 s5, 0x3fe22d96
	;; [unrolled: 1-line block ×6, first 2 shown]
	v_add_f64 v[69:70], v[38:39], -v[14:15]
	v_add_f64 v[71:72], v[16:17], v[40:41]
	s_mov_b32 s6, 0x42a4c3d2
	s_mov_b32 s16, 0xd0032e0c
	v_mul_f64 v[65:66], v[54:55], s[8:9]
	v_add_f64 v[57:58], v[44:45], v[57:58]
	v_mul_f64 v[63:64], v[54:55], s[4:5]
	v_mul_f64 v[97:98], v[54:55], s[14:15]
	s_mov_b32 s7, 0x3fea55e2
	v_mul_f64 v[87:88], v[59:60], s[20:21]
	s_mov_b32 s34, 0x2ef20147
	s_mov_b32 s17, 0xbfe7f3cc
	;; [unrolled: 1-line block ×3, first 2 shown]
	v_mul_f64 v[85:86], v[59:60], s[14:15]
	v_mul_f64 v[109:110], v[54:55], s[16:17]
	;; [unrolled: 1-line block ×3, first 2 shown]
	s_mov_b32 s18, 0xe00740e9
	v_mul_f64 v[117:118], v[59:60], s[16:17]
	v_mul_f64 v[127:128], v[54:55], s[20:21]
	s_mov_b32 s25, 0xbfedeba7
	s_mov_b32 s19, 0x3fec55a7
	;; [unrolled: 1-line block ×3, first 2 shown]
	v_add_f64 v[73:74], v[42:43], -v[18:19]
	v_add_f64 v[83:84], v[20:21], v[32:33]
	v_mul_f64 v[107:108], v[71:72], s[18:19]
	v_mul_f64 v[54:55], v[54:55], s[18:19]
	v_fma_f64 v[91:92], v[52:53], s[22:23], v[65:66]
	v_add_f64 v[57:58], v[36:37], v[57:58]
	v_fma_f64 v[89:90], v[52:53], s[6:7], v[63:64]
	v_fma_f64 v[119:120], v[52:53], s[34:35], v[97:98]
	s_mov_b32 s36, 0x24c2f84
	v_fma_f64 v[113:114], v[61:62], s[28:29], v[87:88]
	s_mov_b32 s37, 0x3fe5384d
	s_mov_b32 s27, 0xbfe5384d
	;; [unrolled: 1-line block ×5, first 2 shown]
	v_fma_f64 v[147:148], v[69:70], s[24:25], v[103:104]
	v_mul_f64 v[101:102], v[67:68], s[20:21]
	v_fma_f64 v[111:112], v[61:62], s[34:35], v[85:86]
	v_mul_f64 v[129:130], v[59:60], s[8:9]
	v_fma_f64 v[149:150], v[52:53], s[36:37], v[109:110]
	s_mov_b32 s30, 0x4267c47c
	s_mov_b32 s39, 0xbfefc445
	;; [unrolled: 1-line block ×5, first 2 shown]
	v_mul_f64 v[141:142], v[59:60], s[18:19]
	v_add_f64 v[91:92], v[0:1], v[91:92]
	v_add_f64 v[57:58], v[40:41], v[57:58]
	;; [unrolled: 1-line block ×4, first 2 shown]
	v_fma_f64 v[153:154], v[52:53], s[28:29], v[127:128]
	v_fma_f64 v[127:128], v[52:53], s[40:41], v[127:128]
	s_mov_b32 s31, 0x3fddbe06
	s_mov_b32 s45, 0xbfddbe06
	;; [unrolled: 1-line block ×3, first 2 shown]
	v_fma_f64 v[97:98], v[52:53], s[24:25], v[97:98]
	v_fma_f64 v[109:110], v[52:53], s[26:27], v[109:110]
	;; [unrolled: 1-line block ×4, first 2 shown]
	v_add_f64 v[93:94], v[34:35], -v[22:23]
	v_mul_f64 v[121:122], v[83:84], s[4:5]
	v_mul_f64 v[59:60], v[59:60], s[4:5]
	v_fma_f64 v[155:156], v[73:74], s[44:45], v[107:108]
	v_fma_f64 v[165:166], v[52:53], s[30:31], v[54:55]
	;; [unrolled: 1-line block ×3, first 2 shown]
	v_mul_f64 v[105:106], v[71:72], s[16:17]
	v_mul_f64 v[131:132], v[67:68], s[18:19]
	v_mul_f64 v[133:134], v[67:68], s[4:5]
	v_add_f64 v[91:92], v[113:114], v[91:92]
	v_add_f64 v[57:58], v[32:33], v[57:58]
	v_fma_f64 v[113:114], v[61:62], s[26:27], v[117:118]
	v_fma_f64 v[145:146], v[69:70], s[28:29], v[101:102]
	v_add_f64 v[89:90], v[111:112], v[89:90]
	v_fma_f64 v[163:164], v[61:62], s[38:39], v[129:130]
	v_add_f64 v[149:150], v[0:1], v[149:150]
	v_mul_f64 v[143:144], v[67:68], s[16:17]
	v_add_f64 v[127:128], v[0:1], v[127:128]
	v_fma_f64 v[117:118], v[61:62], s[36:37], v[117:118]
	v_fma_f64 v[129:130], v[61:62], s[22:23], v[129:130]
	v_add_f64 v[97:98], v[0:1], v[97:98]
	v_add_f64 v[109:110], v[0:1], v[109:110]
	v_fma_f64 v[85:86], v[61:62], s[24:25], v[85:86]
	v_fma_f64 v[87:88], v[61:62], s[40:41], v[87:88]
	v_add_f64 v[63:64], v[0:1], v[63:64]
	v_add_f64 v[65:66], v[0:1], v[65:66]
	v_mul_f64 v[67:68], v[67:68], s[8:9]
	v_fma_f64 v[159:160], v[93:94], s[6:7], v[121:122]
	v_add_f64 v[165:166], v[0:1], v[165:166]
	v_mul_f64 v[135:136], v[71:72], s[8:9]
	v_mul_f64 v[137:138], v[71:72], s[20:21]
	v_add_f64 v[91:92], v[147:148], v[91:92]
	v_add_f64 v[54:55], v[28:29], v[57:58]
	v_add_f64 v[113:114], v[113:114], v[119:120]
	v_fma_f64 v[119:120], v[61:62], s[44:45], v[141:142]
	v_fma_f64 v[141:142], v[61:62], s[30:31], v[141:142]
	v_add_f64 v[57:58], v[0:1], v[153:154]
	v_fma_f64 v[153:154], v[61:62], s[6:7], v[59:60]
	v_fma_f64 v[59:60], v[61:62], s[42:43], v[59:60]
	v_add_f64 v[0:1], v[0:1], v[52:53]
	v_fma_f64 v[151:152], v[73:74], s[26:27], v[105:106]
	v_add_f64 v[89:90], v[145:146], v[89:90]
	v_fma_f64 v[145:146], v[69:70], s[44:45], v[131:132]
	v_fma_f64 v[147:148], v[69:70], s[6:7], v[133:134]
	v_add_f64 v[149:150], v[163:164], v[149:150]
	v_mul_f64 v[111:112], v[71:72], s[4:5]
	v_add_f64 v[97:98], v[117:118], v[97:98]
	v_add_f64 v[109:110], v[129:130], v[109:110]
	v_fma_f64 v[101:102], v[69:70], s[40:41], v[101:102]
	v_fma_f64 v[103:104], v[69:70], s[34:35], v[103:104]
	v_add_f64 v[63:64], v[85:86], v[63:64]
	v_add_f64 v[65:66], v[87:88], v[65:66]
	v_mul_f64 v[71:72], v[71:72], s[14:15]
	v_add_f64 v[91:92], v[155:156], v[91:92]
	v_add_f64 v[52:53], v[24:25], v[54:55]
	v_fma_f64 v[155:156], v[69:70], s[36:37], v[143:144]
	v_fma_f64 v[143:144], v[69:70], s[26:27], v[143:144]
	v_add_f64 v[95:96], v[24:25], v[28:29]
	v_add_f64 v[54:55], v[119:120], v[57:58]
	;; [unrolled: 1-line block ×3, first 2 shown]
	v_fma_f64 v[119:120], v[69:70], s[30:31], v[131:132]
	v_fma_f64 v[127:128], v[69:70], s[42:43], v[133:134]
	v_add_f64 v[85:86], v[153:154], v[165:166]
	v_add_f64 v[0:1], v[59:60], v[0:1]
	v_mul_f64 v[115:116], v[83:84], s[8:9]
	v_mul_f64 v[139:140], v[83:84], s[20:21]
	v_add_f64 v[89:90], v[151:152], v[89:90]
	v_fma_f64 v[151:152], v[73:74], s[22:23], v[135:136]
	v_add_f64 v[113:114], v[145:146], v[113:114]
	v_fma_f64 v[61:62], v[73:74], s[40:41], v[137:138]
	v_add_f64 v[87:88], v[147:148], v[149:150]
	v_mul_f64 v[129:130], v[83:84], s[18:19]
	v_fma_f64 v[59:60], v[73:74], s[42:43], v[111:112]
	v_add_f64 v[63:64], v[101:102], v[63:64]
	v_add_f64 v[65:66], v[103:104], v[65:66]
	;; [unrolled: 1-line block ×3, first 2 shown]
	v_fma_f64 v[91:92], v[69:70], s[22:23], v[67:68]
	v_fma_f64 v[67:68], v[69:70], s[38:39], v[67:68]
	v_add_f64 v[52:53], v[20:21], v[52:53]
	v_fma_f64 v[69:70], v[73:74], s[6:7], v[111:112]
	v_add_f64 v[54:55], v[155:156], v[54:55]
	v_add_f64 v[57:58], v[143:144], v[57:58]
	v_mul_f64 v[111:112], v[83:84], s[14:15]
	v_add_f64 v[97:98], v[119:120], v[97:98]
	v_add_f64 v[109:110], v[127:128], v[109:110]
	v_fma_f64 v[119:120], v[73:74], s[38:39], v[135:136]
	v_fma_f64 v[127:128], v[73:74], s[28:29], v[137:138]
	v_fma_f64 v[101:102], v[73:74], s[36:37], v[105:106]
	v_fma_f64 v[103:104], v[73:74], s[30:31], v[107:108]
	v_mul_f64 v[83:84], v[83:84], s[16:17]
	v_add_f64 v[99:100], v[30:31], -v[26:27]
	v_mul_f64 v[123:124], v[95:96], s[18:19]
	v_mul_f64 v[125:126], v[95:96], s[16:17]
	v_fma_f64 v[157:158], v[93:94], s[38:39], v[115:116]
	v_add_f64 v[113:114], v[151:152], v[113:114]
	v_add_f64 v[61:62], v[61:62], v[87:88]
	v_fma_f64 v[87:88], v[93:94], s[40:41], v[139:140]
	v_fma_f64 v[105:106], v[93:94], s[44:45], v[129:130]
	v_add_f64 v[85:86], v[91:92], v[85:86]
	v_fma_f64 v[91:92], v[73:74], s[34:35], v[71:72]
	v_fma_f64 v[71:72], v[73:74], s[24:25], v[71:72]
	v_add_f64 v[0:1], v[67:68], v[0:1]
	v_add_f64 v[52:53], v[16:17], v[52:53]
	v_mul_f64 v[67:68], v[95:96], s[4:5]
	v_mul_f64 v[73:74], v[95:96], s[14:15]
	v_add_f64 v[54:55], v[59:60], v[54:55]
	v_add_f64 v[57:58], v[69:70], v[57:58]
	v_fma_f64 v[59:60], v[93:94], s[34:35], v[111:112]
	v_fma_f64 v[69:70], v[93:94], s[24:25], v[111:112]
	v_mul_f64 v[107:108], v[95:96], s[8:9]
	v_add_f64 v[97:98], v[119:120], v[97:98]
	v_add_f64 v[109:110], v[127:128], v[109:110]
	v_fma_f64 v[111:112], v[93:94], s[28:29], v[139:140]
	v_fma_f64 v[119:120], v[93:94], s[30:31], v[129:130]
	v_add_f64 v[63:64], v[101:102], v[63:64]
	v_add_f64 v[65:66], v[103:104], v[65:66]
	v_fma_f64 v[101:102], v[93:94], s[22:23], v[115:116]
	v_fma_f64 v[103:104], v[93:94], s[42:43], v[121:122]
	v_mul_f64 v[95:96], v[95:96], s[20:21]
	v_fma_f64 v[161:162], v[99:100], s[44:45], v[123:124]
	v_add_f64 v[89:90], v[157:158], v[89:90]
	v_add_f64 v[85:86], v[91:92], v[85:86]
	v_fma_f64 v[91:92], v[93:94], s[36:37], v[83:84]
	v_fma_f64 v[83:84], v[93:94], s[26:27], v[83:84]
	v_add_f64 v[0:1], v[71:72], v[0:1]
	v_add_f64 v[52:53], v[12:13], v[52:53]
	v_fma_f64 v[115:116], v[99:100], s[36:37], v[125:126]
	v_add_f64 v[71:72], v[87:88], v[113:114]
	v_add_f64 v[61:62], v[105:106], v[61:62]
	v_fma_f64 v[87:88], v[99:100], s[42:43], v[67:68]
	v_fma_f64 v[93:94], v[99:100], s[34:35], v[73:74]
	v_and_b32_e32 v75, 1, v56
	v_add_f64 v[54:55], v[59:60], v[54:55]
	v_add_f64 v[56:57], v[69:70], v[57:58]
	v_fma_f64 v[58:59], v[99:100], s[38:39], v[107:108]
	v_fma_f64 v[69:70], v[99:100], s[22:23], v[107:108]
	v_add_f64 v[97:98], v[111:112], v[97:98]
	v_add_f64 v[105:106], v[119:120], v[109:110]
	v_fma_f64 v[67:68], v[99:100], s[6:7], v[67:68]
	v_fma_f64 v[73:74], v[99:100], s[24:25], v[73:74]
	;; [unrolled: 4-line block ×3, first 2 shown]
	v_fma_f64 v[107:108], v[99:100], s[28:29], v[95:96]
	v_fma_f64 v[95:96], v[99:100], s[40:41], v[95:96]
	v_add_f64 v[0:1], v[83:84], v[0:1]
	v_add_f64 v[85:86], v[91:92], v[85:86]
	;; [unrolled: 1-line block ×3, first 2 shown]
	v_cmp_eq_u32_e64 s0, 1, v75
	v_add_f64 v[89:90], v[161:162], v[89:90]
	v_add_f64 v[99:100], v[115:116], v[117:118]
	;; [unrolled: 1-line block ×4, first 2 shown]
	v_cndmask_b32_e64 v91, 0, 0x152, s0
	s_load_dwordx2 s[2:3], s[2:3], 0x0
	v_add_f64 v[54:55], v[58:59], v[54:55]
	v_add_f64 v[56:57], v[69:70], v[56:57]
	v_cmp_gt_u32_e64 s0, 13, v82
	v_lshl_add_u32 v75, v91, 3, 0
	v_add_f64 v[58:59], v[67:68], v[97:98]
	v_add_f64 v[67:68], v[73:74], v[105:106]
	;; [unrolled: 1-line block ×7, first 2 shown]
	v_mad_u32_u24 v0, 0x68, v82, v75
	v_lshl_add_u32 v96, v82, 3, v75
	ds_write2_b64 v0, v[89:90], v[99:100] offset0:2 offset1:3
	ds_write2_b64 v0, v[71:72], v[60:61] offset0:4 offset1:5
	;; [unrolled: 1-line block ×5, first 2 shown]
	ds_write_b64 v0, v[52:53] offset:96
	ds_write2_b64 v0, v[73:74], v[69:70] offset1:1
	v_mad_i32_i24 v97, 0xffffffa0, v82, v0
	s_waitcnt lgkmcnt(0)
	s_barrier
	buffer_gl0_inv
	v_add_nc_u32_e32 v87, 0x400, v97
	ds_read_b64 v[85:86], v96
	ds_read_b64 v[83:84], v97 offset:2392
	ds_read2_b64 v[64:67], v97 offset0:130 offset1:169
	ds_read2_b64 v[68:71], v97 offset0:26 offset1:52
	;; [unrolled: 1-line block ×5, first 2 shown]
	s_and_saveexec_b32 s1, s0
	s_cbranch_execz .LBB0_15
; %bb.14:
	ds_read2_b64 v[52:55], v87 offset0:28 offset1:197
.LBB0_15:
	s_or_b32 exec_lo, exec_lo, s1
	v_add_f64 v[88:89], v[50:51], v[2:3]
	v_add_f64 v[24:25], v[28:29], -v[24:25]
	v_add_f64 v[4:5], v[48:49], -v[4:5]
	;; [unrolled: 1-line block ×3, first 2 shown]
	v_add_f64 v[44:45], v[6:7], v[50:51]
	v_add_f64 v[12:13], v[36:37], -v[12:13]
	v_add_f64 v[36:37], v[10:11], v[46:47]
	v_add_f64 v[16:17], v[40:41], -v[16:17]
	;; [unrolled: 2-line block ×3, first 2 shown]
	v_add_f64 v[32:33], v[26:27], v[30:31]
	v_add_f64 v[48:49], v[18:19], v[42:43]
	s_waitcnt lgkmcnt(0)
	s_barrier
	buffer_gl0_inv
	v_add_f64 v[88:89], v[46:47], v[88:89]
	v_add_f64 v[46:47], v[14:15], v[38:39]
	v_mul_f64 v[50:51], v[4:5], s[42:43]
	v_mul_f64 v[92:93], v[4:5], s[24:25]
	;; [unrolled: 1-line block ×20, first 2 shown]
	v_add_f64 v[28:29], v[38:39], v[88:89]
	v_mul_f64 v[38:39], v[4:5], s[44:45]
	v_mul_f64 v[88:89], v[4:5], s[38:39]
	;; [unrolled: 1-line block ×3, first 2 shown]
	v_fma_f64 v[148:149], v[44:45], s[4:5], v[50:51]
	v_fma_f64 v[50:51], v[44:45], s[4:5], -v[50:51]
	v_fma_f64 v[152:153], v[44:45], s[16:17], v[94:95]
	v_fma_f64 v[94:95], v[44:45], s[16:17], -v[94:95]
	;; [unrolled: 2-line block ×7, first 2 shown]
	v_fma_f64 v[166:167], v[46:47], s[20:21], v[110:111]
	v_fma_f64 v[168:169], v[46:47], s[18:19], v[114:115]
	v_fma_f64 v[114:115], v[46:47], s[18:19], -v[114:115]
	v_fma_f64 v[170:171], v[46:47], s[4:5], v[116:117]
	v_add_f64 v[28:29], v[42:43], v[28:29]
	v_fma_f64 v[146:147], v[44:45], s[18:19], v[38:39]
	v_fma_f64 v[150:151], v[44:45], s[8:9], v[88:89]
	;; [unrolled: 1-line block ×3, first 2 shown]
	v_fma_f64 v[4:5], v[44:45], s[20:21], -v[4:5]
	v_fma_f64 v[88:89], v[44:45], s[8:9], -v[88:89]
	;; [unrolled: 1-line block ×4, first 2 shown]
	v_fma_f64 v[172:173], v[46:47], s[16:17], v[12:13]
	v_fma_f64 v[12:13], v[46:47], s[16:17], -v[12:13]
	v_add_f64 v[50:51], v[2:3], v[50:51]
	v_add_f64 v[94:95], v[2:3], v[94:95]
	v_mul_f64 v[42:43], v[16:17], s[38:39]
	v_mul_f64 v[16:17], v[16:17], s[6:7]
	v_mul_f64 v[128:129], v[20:21], s[22:23]
	v_mul_f64 v[130:131], v[20:21], s[42:43]
	v_mul_f64 v[132:133], v[20:21], s[28:29]
	v_mul_f64 v[134:135], v[20:21], s[30:31]
	v_fma_f64 v[176:177], v[48:49], s[20:21], v[124:125]
	v_mul_f64 v[20:21], v[20:21], s[24:25]
	v_mul_f64 v[136:137], v[24:25], s[40:41]
	;; [unrolled: 1-line block ×3, first 2 shown]
	v_add_f64 v[28:29], v[34:35], v[28:29]
	v_fma_f64 v[34:35], v[44:45], s[14:15], v[92:93]
	v_fma_f64 v[92:93], v[44:45], s[14:15], -v[92:93]
	v_fma_f64 v[44:45], v[36:37], s[4:5], v[98:99]
	v_fma_f64 v[98:99], v[36:37], s[4:5], -v[98:99]
	v_fma_f64 v[36:37], v[46:47], s[8:9], v[108:109]
	v_fma_f64 v[108:109], v[46:47], s[8:9], -v[108:109]
	v_add_f64 v[4:5], v[2:3], v[4:5]
	v_add_f64 v[88:89], v[2:3], v[88:89]
	v_mul_f64 v[140:141], v[24:25], s[26:27]
	v_add_f64 v[50:51], v[100:101], v[50:51]
	v_mul_f64 v[142:143], v[24:25], s[6:7]
	v_fma_f64 v[174:175], v[48:49], s[8:9], v[42:43]
	v_fma_f64 v[42:43], v[48:49], s[8:9], -v[42:43]
	v_mul_f64 v[144:145], v[24:25], s[24:25]
	v_mul_f64 v[24:25], v[24:25], s[22:23]
	v_add_f64 v[28:29], v[30:31], v[28:29]
	v_fma_f64 v[30:31], v[46:47], s[20:21], -v[110:111]
	v_fma_f64 v[110:111], v[46:47], s[14:15], v[112:113]
	v_fma_f64 v[112:113], v[46:47], s[14:15], -v[112:113]
	v_add_f64 v[46:47], v[2:3], v[146:147]
	v_add_f64 v[146:147], v[2:3], v[148:149]
	;; [unrolled: 1-line block ×11, first 2 shown]
	v_fma_f64 v[38:39], v[48:49], s[14:15], -v[118:119]
	v_fma_f64 v[154:155], v[48:49], s[18:19], v[122:123]
	v_fma_f64 v[94:95], v[48:49], s[4:5], v[16:17]
	v_fma_f64 v[16:17], v[48:49], s[4:5], -v[16:17]
	v_fma_f64 v[122:123], v[48:49], s[18:19], -v[122:123]
	v_fma_f64 v[102:103], v[40:41], s[8:9], v[128:129]
	v_fma_f64 v[106:107], v[40:41], s[8:9], -v[128:129]
	v_add_f64 v[26:27], v[26:27], v[28:29]
	v_fma_f64 v[28:29], v[48:49], s[14:15], v[118:119]
	v_fma_f64 v[118:119], v[48:49], s[16:17], v[120:121]
	v_add_f64 v[30:31], v[30:31], v[50:51]
	v_add_f64 v[44:45], v[44:45], v[46:47]
	;; [unrolled: 1-line block ×9, first 2 shown]
	v_fma_f64 v[120:121], v[48:49], s[16:17], -v[120:121]
	v_add_f64 v[3:4], v[12:13], v[3:4]
	v_add_f64 v[8:9], v[116:117], v[8:9]
	v_add_f64 v[12:13], v[112:113], v[88:89]
	v_fma_f64 v[88:89], v[40:41], s[20:21], -v[132:133]
	v_fma_f64 v[98:99], v[40:41], s[16:17], -v[126:127]
	;; [unrolled: 1-line block ×3, first 2 shown]
	v_fma_f64 v[116:117], v[32:33], s[8:9], v[24:25]
	v_fma_f64 v[24:25], v[32:33], s[8:9], -v[24:25]
	v_add_f64 v[22:23], v[22:23], v[26:27]
	v_fma_f64 v[26:27], v[48:49], s[20:21], -v[124:125]
	v_fma_f64 v[48:49], v[40:41], s[16:17], v[126:127]
	v_fma_f64 v[124:125], v[40:41], s[4:5], v[130:131]
	v_add_f64 v[36:37], v[36:37], v[44:45]
	v_add_f64 v[44:45], v[166:167], v[46:47]
	;; [unrolled: 1-line block ×8, first 2 shown]
	v_fma_f64 v[104:105], v[40:41], s[18:19], v[134:135]
	v_fma_f64 v[110:111], v[40:41], s[14:15], v[20:21]
	v_fma_f64 v[20:21], v[40:41], s[14:15], -v[20:21]
	v_add_f64 v[30:31], v[120:121], v[30:31]
	v_add_f64 v[3:4], v[16:17], v[3:4]
	v_fma_f64 v[108:109], v[40:41], s[18:19], -v[134:135]
	v_fma_f64 v[126:127], v[40:41], s[4:5], -v[130:131]
	v_add_f64 v[12:13], v[122:123], v[12:13]
	v_fma_f64 v[114:115], v[32:33], s[18:19], v[138:139]
	v_fma_f64 v[16:17], v[32:33], s[18:19], -v[138:139]
	v_add_f64 v[18:19], v[18:19], v[22:23]
	v_fma_f64 v[22:23], v[40:41], s[20:21], v[132:133]
	v_add_f64 v[8:9], v[26:27], v[8:9]
	v_fma_f64 v[40:41], v[32:33], s[20:21], v[136:137]
	v_add_f64 v[28:29], v[28:29], v[36:37]
	v_add_f64 v[36:37], v[118:119], v[44:45]
	;; [unrolled: 1-line block ×8, first 2 shown]
	v_fma_f64 v[26:27], v[32:33], s[16:17], -v[140:141]
	v_fma_f64 v[38:39], v[32:33], s[4:5], v[142:143]
	v_fma_f64 v[92:93], v[32:33], s[4:5], -v[142:143]
	v_fma_f64 v[94:95], v[32:33], s[14:15], v[144:145]
	v_fma_f64 v[100:101], v[32:33], s[14:15], -v[144:145]
	v_add_f64 v[30:31], v[106:107], v[30:31]
	v_add_f64 v[3:4], v[20:21], v[3:4]
	;; [unrolled: 1-line block ×4, first 2 shown]
	v_fma_f64 v[18:19], v[32:33], s[16:17], v[140:141]
	v_add_f64 v[8:9], v[108:109], v[8:9]
	v_add_f64 v[28:29], v[48:49], v[28:29]
	;; [unrolled: 1-line block ×23, first 2 shown]
	ds_write2_b64 v0, v[28:29], v[18:19] offset0:2 offset1:3
	ds_write2_b64 v0, v[22:23], v[32:33] offset0:4 offset1:5
	;; [unrolled: 1-line block ×5, first 2 shown]
	ds_write_b64 v0, v[20:21] offset:96
	ds_write2_b64 v0, v[1:2], v[14:15] offset1:1
	s_waitcnt lgkmcnt(0)
	s_barrier
	buffer_gl0_inv
	ds_read2_b64 v[4:7], v97 offset0:130 offset1:169
	ds_read2_b64 v[24:27], v97 offset0:26 offset1:52
	;; [unrolled: 1-line block ×5, first 2 shown]
	ds_read_b64 v[87:88], v96
	ds_read_b64 v[89:90], v97 offset:2392
	s_and_saveexec_b32 s1, s0
	s_cbranch_execz .LBB0_17
; %bb.16:
	v_add_nc_u32_e32 v12, 0x400, v97
	ds_read2_b64 v[20:23], v12 offset0:28 offset1:197
.LBB0_17:
	s_or_b32 exec_lo, exec_lo, s1
	v_add_nc_u16 v14, v82, 26
	v_add_nc_u16 v15, v82, 52
	;; [unrolled: 1-line block ×5, first 2 shown]
	v_and_b32_e32 v18, 0xff, v14
	v_and_b32_e32 v32, 0xff, v15
	;; [unrolled: 1-line block ×5, first 2 shown]
	v_mul_lo_u16 v18, 0x4f, v18
	v_add_nc_u32_e32 v12, -13, v82
	v_mov_b32_e32 v94, 0
	v_lshlrev_b32_e32 v91, 3, v91
	v_lshrrev_b16 v110, 10, v18
	v_mul_lo_u16 v18, 0x4f, v32
	v_mul_lo_u16 v32, 0x4f, v33
	;; [unrolled: 1-line block ×4, first 2 shown]
	v_cndmask_b32_e64 v93, v12, v82, s0
	v_mul_lo_u16 v35, v110, 13
	v_lshrrev_b16 v111, 10, v18
	v_lshrrev_b16 v112, 10, v32
	;; [unrolled: 1-line block ×4, first 2 shown]
	v_lshlrev_b64 v[12:13], 4, v[93:94]
	v_sub_nc_u16 v116, v14, v35
	v_mul_lo_u16 v14, v111, 13
	v_mul_lo_u16 v18, v112, 13
	;; [unrolled: 1-line block ×4, first 2 shown]
	v_mov_b32_e32 v34, 4
	v_sub_nc_u16 v117, v15, v14
	v_add_co_u32 v12, s1, s12, v12
	v_sub_nc_u16 v118, v16, v18
	v_sub_nc_u16 v119, v17, v32
	;; [unrolled: 1-line block ×3, first 2 shown]
	v_add_co_ci_u32_e64 v13, s1, s13, v13, s1
	v_lshlrev_b32_sdwa v16, v34, v116 dst_sel:DWORD dst_unused:UNUSED_PAD src0_sel:DWORD src1_sel:BYTE_0
	v_lshlrev_b32_sdwa v32, v34, v117 dst_sel:DWORD dst_unused:UNUSED_PAD src0_sel:DWORD src1_sel:BYTE_0
	;; [unrolled: 1-line block ×5, first 2 shown]
	s_clause 0x5
	global_load_dwordx4 v[12:15], v[12:13], off
	global_load_dwordx4 v[16:19], v16, s[12:13]
	global_load_dwordx4 v[36:39], v32, s[12:13]
	;; [unrolled: 1-line block ×5, first 2 shown]
	v_add_nc_u16 v32, v82, 0x9c
	v_cmp_lt_u32_e64 s1, 12, v82
	v_lshlrev_b32_e32 v93, 3, v93
	v_and_b32_e32 v121, 0xffff, v112
	v_and_b32_e32 v122, 0xffff, v113
	;; [unrolled: 1-line block ×3, first 2 shown]
	v_cndmask_b32_e64 v115, 0, 0xd0, s1
	v_and_b32_e32 v123, 0xffff, v114
	v_mul_lo_u16 v33, 0x4f, v33
	v_lshrrev_b16 v33, 10, v33
	v_mul_lo_u16 v33, v33, 13
	v_sub_nc_u16 v92, v32, v33
	v_lshlrev_b32_sdwa v32, v34, v92 dst_sel:DWORD dst_unused:UNUSED_PAD src0_sel:DWORD src1_sel:BYTE_0
	global_load_dwordx4 v[32:35], v32, s[12:13]
	s_waitcnt vmcnt(0) lgkmcnt(0)
	s_barrier
	buffer_gl0_inv
	v_mul_f64 v[94:95], v[6:7], v[14:15]
	v_mul_f64 v[98:99], v[0:1], v[18:19]
	;; [unrolled: 1-line block ×6, first 2 shown]
	v_fma_f64 v[94:95], v[66:67], v[12:13], -v[94:95]
	v_fma_f64 v[98:99], v[60:61], v[16:17], -v[98:99]
	;; [unrolled: 1-line block ×6, first 2 shown]
	v_add_f64 v[108:109], v[85:86], -v[94:95]
	v_add_f64 v[98:99], v[68:69], -v[98:99]
	;; [unrolled: 1-line block ×6, first 2 shown]
	v_add_nc_u32_e32 v95, 0, v115
	v_mov_b32_e32 v94, 3
	v_add3_u32 v93, v95, v93, v91
	v_and_b32_e32 v95, 0xffff, v110
	v_and_b32_e32 v110, 0xffff, v111
	v_mad_u32_u24 v95, 0xd0, v95, 0
	v_mad_u32_u24 v124, 0xd0, v110, 0
	v_fma_f64 v[85:86], v[85:86], 2.0, -v[108:109]
	v_fma_f64 v[110:111], v[68:69], 2.0, -v[98:99]
	;; [unrolled: 1-line block ×6, first 2 shown]
	v_mad_u32_u24 v68, 0xd0, v121, 0
	v_mad_u32_u24 v69, 0xd0, v122, 0
	;; [unrolled: 1-line block ×3, first 2 shown]
	v_lshlrev_b32_sdwa v64, v94, v116 dst_sel:DWORD dst_unused:UNUSED_PAD src0_sel:DWORD src1_sel:BYTE_0
	v_lshlrev_b32_sdwa v65, v94, v117 dst_sel:DWORD dst_unused:UNUSED_PAD src0_sel:DWORD src1_sel:BYTE_0
	;; [unrolled: 1-line block ×5, first 2 shown]
	v_add3_u32 v64, v95, v64, v91
	v_add3_u32 v65, v124, v65, v91
	;; [unrolled: 1-line block ×5, first 2 shown]
	ds_write2_b64 v93, v[85:86], v[108:109] offset1:13
	ds_write2_b64 v64, v[110:111], v[98:99] offset1:13
	;; [unrolled: 1-line block ×6, first 2 shown]
	s_and_saveexec_b32 s1, s0
	s_cbranch_execz .LBB0_19
; %bb.18:
	v_mul_f64 v[71:72], v[22:23], v[34:35]
	v_lshlrev_b32_sdwa v73, v94, v92 dst_sel:DWORD dst_unused:UNUSED_PAD src0_sel:DWORD src1_sel:BYTE_0
	v_add3_u32 v73, 0, v73, v91
	v_add_nc_u32_e32 v73, 0x800, v73
	v_fma_f64 v[71:72], v[54:55], v[32:33], -v[71:72]
	v_add_f64 v[71:72], v[52:53], -v[71:72]
	v_fma_f64 v[52:53], v[52:53], 2.0, -v[71:72]
	ds_write2_b64 v73, v[52:53], v[71:72] offset0:56 offset1:69
.LBB0_19:
	s_or_b32 exec_lo, exec_lo, s1
	v_mul_f64 v[14:15], v[66:67], v[14:15]
	v_mul_f64 v[18:19], v[60:61], v[18:19]
	;; [unrolled: 1-line block ×6, first 2 shown]
	s_waitcnt lgkmcnt(0)
	s_barrier
	buffer_gl0_inv
	v_fma_f64 v[6:7], v[6:7], v[12:13], v[14:15]
	v_fma_f64 v[0:1], v[0:1], v[16:17], v[18:19]
	;; [unrolled: 1-line block ×6, first 2 shown]
	v_add_f64 v[37:38], v[87:88], -v[6:7]
	v_add_f64 v[39:40], v[24:25], -v[0:1]
	;; [unrolled: 1-line block ×6, first 2 shown]
	v_lshlrev_b32_e32 v0, 3, v82
	v_add3_u32 v36, 0, v0, v91
	ds_read2_b64 v[0:3], v97 offset0:26 offset1:52
	ds_read2_b64 v[8:11], v97 offset0:78 offset1:104
	;; [unrolled: 1-line block ×4, first 2 shown]
	v_add_nc_u32_e32 v6, 0x800, v36
	v_fma_f64 v[52:53], v[87:88], 2.0, -v[37:38]
	v_fma_f64 v[56:57], v[24:25], 2.0, -v[39:40]
	;; [unrolled: 1-line block ×4, first 2 shown]
	ds_read_b64 v[48:49], v96
	ds_read_b64 v[26:27], v97 offset:1040
	ds_read_b64 v[24:25], v36 offset:2496
	ds_read2_b64 v[4:7], v6 offset0:4 offset1:30
	v_fma_f64 v[28:29], v[28:29], 2.0, -v[43:44]
	v_fma_f64 v[30:31], v[30:31], 2.0, -v[45:46]
	s_waitcnt lgkmcnt(0)
	s_barrier
	buffer_gl0_inv
	ds_write2_b64 v93, v[52:53], v[37:38] offset1:13
	ds_write2_b64 v64, v[56:57], v[39:40] offset1:13
	;; [unrolled: 1-line block ×6, first 2 shown]
	s_and_saveexec_b32 s1, s0
	s_cbranch_execz .LBB0_21
; %bb.20:
	v_mul_f64 v[28:29], v[54:55], v[34:35]
	v_fma_f64 v[22:23], v[22:23], v[32:33], v[28:29]
	v_mov_b32_e32 v28, 3
	v_lshlrev_b32_sdwa v28, v28, v92 dst_sel:DWORD dst_unused:UNUSED_PAD src0_sel:DWORD src1_sel:BYTE_0
	v_add3_u32 v28, 0, v28, v91
	v_add_nc_u32_e32 v28, 0x800, v28
	v_add_f64 v[22:23], v[20:21], -v[22:23]
	v_fma_f64 v[20:21], v[20:21], 2.0, -v[22:23]
	ds_write2_b64 v28, v[20:21], v[22:23] offset0:56 offset1:69
.LBB0_21:
	s_or_b32 exec_lo, exec_lo, s1
	s_waitcnt lgkmcnt(0)
	s_barrier
	buffer_gl0_inv
	s_and_saveexec_b32 s0, vcc_lo
	s_cbranch_execz .LBB0_23
; %bb.22:
	v_mul_u32_u24_e32 v20, 12, v82
	s_mov_b32 s0, 0x93053d00
	s_mov_b32 s1, 0xbfef11f4
	;; [unrolled: 1-line block ×4, first 2 shown]
	v_lshlrev_b32_e32 v41, 4, v20
	s_mov_b32 s5, 0x3fec55a7
	s_mov_b32 s9, 0x3fcea1e5
	;; [unrolled: 1-line block ×4, first 2 shown]
	s_clause 0x1
	global_load_dwordx4 v[20:23], v41, s[12:13] offset:288
	global_load_dwordx4 v[28:31], v41, s[12:13] offset:272
	ds_read2_b64 v[32:35], v36 offset0:156 offset1:182
	s_mov_b32 s29, 0x3fddbe06
	s_mov_b32 s28, s6
	;; [unrolled: 1-line block ×25, first 2 shown]
	s_waitcnt vmcnt(1)
	v_mul_f64 v[37:38], v[16:17], v[22:23]
	s_waitcnt lgkmcnt(0)
	v_mul_f64 v[22:23], v[32:33], v[22:23]
	v_fma_f64 v[50:51], v[32:33], v[20:21], v[37:38]
	v_fma_f64 v[52:53], v[16:17], v[20:21], -v[22:23]
	s_clause 0x1
	global_load_dwordx4 v[20:23], v41, s[12:13] offset:304
	global_load_dwordx4 v[37:40], v41, s[12:13] offset:320
	s_waitcnt vmcnt(1)
	v_mul_f64 v[16:17], v[18:19], v[22:23]
	v_fma_f64 v[54:55], v[34:35], v[20:21], v[16:17]
	v_mul_f64 v[16:17], v[34:35], v[22:23]
	v_add_f64 v[142:143], v[50:51], v[54:55]
	v_fma_f64 v[56:57], v[18:19], v[20:21], -v[16:17]
	s_waitcnt vmcnt(0)
	v_mul_f64 v[20:21], v[12:13], v[39:40]
	ds_read2_b64 v[16:19], v36 offset0:208 offset1:234
	v_add_f64 v[144:145], v[50:51], -v[54:55]
	v_mul_f64 v[148:149], v[142:143], s[18:19]
	v_add_f64 v[122:123], v[52:53], -v[56:57]
	s_waitcnt lgkmcnt(0)
	v_fma_f64 v[58:59], v[16:17], v[37:38], v[20:21]
	s_clause 0x1
	global_load_dwordx4 v[20:23], v41, s[12:13] offset:336
	global_load_dwordx4 v[32:35], v41, s[12:13] offset:352
	v_mul_f64 v[16:17], v[16:17], v[39:40]
	v_add_f64 v[124:125], v[52:53], v[56:57]
	v_mul_f64 v[150:151], v[144:145], s[40:41]
	v_mul_f64 v[156:157], v[142:143], s[14:15]
	;; [unrolled: 1-line block ×5, first 2 shown]
	v_fma_f64 v[60:61], v[12:13], v[37:38], -v[16:17]
	s_waitcnt vmcnt(1)
	v_mul_f64 v[12:13], v[14:15], v[22:23]
	v_fma_f64 v[62:63], v[18:19], v[20:21], v[12:13]
	v_mul_f64 v[12:13], v[18:19], v[22:23]
	v_fma_f64 v[64:65], v[14:15], v[20:21], -v[12:13]
	s_clause 0x1
	global_load_dwordx4 v[12:15], v41, s[12:13] offset:256
	global_load_dwordx4 v[16:19], v41, s[12:13] offset:240
	ds_read2_b64 v[20:23], v97 offset0:78 offset1:104
	s_waitcnt vmcnt(1)
	v_mul_f64 v[37:38], v[10:11], v[14:15]
	s_waitcnt lgkmcnt(0)
	v_mul_f64 v[14:15], v[22:23], v[14:15]
	v_fma_f64 v[70:71], v[22:23], v[12:13], v[37:38]
	v_fma_f64 v[72:73], v[10:11], v[12:13], -v[14:15]
	s_waitcnt vmcnt(0)
	v_mul_f64 v[10:11], v[8:9], v[18:19]
	v_mul_f64 v[12:13], v[4:5], v[34:35]
	v_add_f64 v[134:135], v[70:71], v[62:63]
	v_add_f64 v[110:111], v[72:73], -v[64:65]
	v_fma_f64 v[74:75], v[20:21], v[16:17], v[10:11]
	v_mul_f64 v[10:11], v[20:21], v[18:19]
	v_add_f64 v[136:137], v[70:71], -v[62:63]
	v_add_f64 v[116:117], v[72:73], v[64:65]
	v_fma_f64 v[82:83], v[8:9], v[16:17], -v[10:11]
	v_add_nc_u32_e32 v8, 0x800, v36
	ds_read2_b64 v[8:11], v8 offset0:4 offset1:30
	s_waitcnt lgkmcnt(0)
	v_fma_f64 v[66:67], v[8:9], v[32:33], v[12:13]
	s_clause 0x1
	global_load_dwordx4 v[12:15], v41, s[12:13] offset:368
	global_load_dwordx4 v[16:19], v41, s[12:13] offset:384
	v_mul_f64 v[8:9], v[8:9], v[34:35]
	v_mul_f64 v[34:35], v[142:143], s[20:21]
	v_add_f64 v[130:131], v[74:75], v[66:67]
	v_add_f64 v[132:133], v[74:75], -v[66:67]
	v_fma_f64 v[68:69], v[4:5], v[32:33], -v[8:9]
	v_add_f64 v[114:115], v[82:83], -v[68:69]
	v_add_f64 v[112:113], v[82:83], v[68:69]
	s_waitcnt vmcnt(1)
	v_mul_f64 v[4:5], v[6:7], v[14:15]
	v_fma_f64 v[84:85], v[10:11], v[12:13], v[4:5]
	v_mul_f64 v[4:5], v[10:11], v[14:15]
	v_fma_f64 v[86:87], v[6:7], v[12:13], -v[4:5]
	s_clause 0x1
	global_load_dwordx4 v[4:7], v41, s[12:13] offset:224
	global_load_dwordx4 v[8:11], v41, s[12:13] offset:208
	ds_read2_b64 v[12:15], v97 offset0:26 offset1:52
	s_mov_b32 s13, 0xbfcea1e5
	s_mov_b32 s12, s8
	v_mul_f64 v[40:41], v[144:145], s[24:25]
	s_waitcnt vmcnt(1)
	v_mul_f64 v[20:21], v[2:3], v[6:7]
	s_waitcnt lgkmcnt(0)
	v_mul_f64 v[6:7], v[14:15], v[6:7]
	v_fma_f64 v[88:89], v[14:15], v[4:5], v[20:21]
	v_fma_f64 v[90:91], v[2:3], v[4:5], -v[6:7]
	s_waitcnt vmcnt(0)
	v_mul_f64 v[2:3], v[0:1], v[10:11]
	v_mul_f64 v[4:5], v[26:27], v[30:31]
	v_add_f64 v[38:39], v[88:89], v[84:85]
	v_add_f64 v[46:47], v[90:91], -v[86:87]
	v_fma_f64 v[92:93], v[12:13], v[8:9], v[2:3]
	v_mul_f64 v[2:3], v[12:13], v[10:11]
	v_add_f64 v[128:129], v[88:89], -v[84:85]
	v_add_f64 v[108:109], v[90:91], v[86:87]
	v_mul_f64 v[6:7], v[38:39], s[4:5]
	v_fma_f64 v[94:95], v[0:1], v[8:9], -v[2:3]
	ds_read_b64 v[0:1], v36 offset:2496
	ds_read_b64 v[2:3], v97 offset:1040
	ds_read_b64 v[104:105], v96
	v_mul_f64 v[10:11], v[128:129], s[28:29]
	s_waitcnt lgkmcnt(1)
	v_fma_f64 v[100:101], v[2:3], v[28:29], v[4:5]
	v_mul_f64 v[2:3], v[2:3], v[30:31]
	v_fma_f64 v[12:13], v[108:109], s[4:5], v[10:11]
	v_add_f64 v[138:139], v[100:101], v[58:59]
	v_fma_f64 v[102:103], v[26:27], v[28:29], -v[2:3]
	v_mul_f64 v[2:3], v[24:25], v[18:19]
	v_add_f64 v[140:141], v[100:101], -v[58:59]
	v_mul_f64 v[26:27], v[142:143], s[30:31]
	v_mul_f64 v[28:29], v[144:145], s[38:39]
	;; [unrolled: 1-line block ×4, first 2 shown]
	v_add_f64 v[118:119], v[102:103], -v[60:61]
	v_fma_f64 v[96:97], v[0:1], v[16:17], v[2:3]
	v_mul_f64 v[0:1], v[0:1], v[18:19]
	v_fma_f64 v[2:3], v[46:47], s[6:7], v[6:7]
	v_fma_f64 v[6:7], v[46:47], s[28:29], v[6:7]
	v_add_f64 v[120:121], v[102:103], v[60:61]
	v_add_f64 v[36:37], v[92:93], v[96:97]
	v_fma_f64 v[98:99], v[24:25], v[16:17], -v[0:1]
	v_add_f64 v[126:127], v[92:93], -v[96:97]
	s_waitcnt lgkmcnt(0)
	v_add_f64 v[92:93], v[104:105], v[92:93]
	v_mul_f64 v[4:5], v[36:37], s[0:1]
	v_add_f64 v[44:45], v[94:95], -v[98:99]
	v_add_f64 v[106:107], v[94:95], v[98:99]
	v_mul_f64 v[8:9], v[126:127], s[12:13]
	v_add_f64 v[88:89], v[88:89], v[92:93]
	v_fma_f64 v[0:1], v[44:45], s[8:9], v[4:5]
	v_fma_f64 v[4:5], v[44:45], s[12:13], v[4:5]
	v_add_f64 v[74:75], v[74:75], v[88:89]
	v_add_f64 v[0:1], v[104:105], v[0:1]
	;; [unrolled: 1-line block ×5, first 2 shown]
	v_fma_f64 v[2:3], v[106:107], s[0:1], v[8:9]
	v_add_f64 v[4:5], v[6:7], v[4:5]
	v_fma_f64 v[6:7], v[106:107], s[0:1], -v[8:9]
	v_fma_f64 v[8:9], v[108:109], s[4:5], -v[10:11]
	;; [unrolled: 1-line block ×3, first 2 shown]
	v_add_f64 v[70:71], v[100:101], v[70:71]
	v_add_f64 v[2:3], v[48:49], v[2:3]
	;; [unrolled: 1-line block ×5, first 2 shown]
	v_mul_f64 v[12:13], v[130:131], s[14:15]
	v_add_f64 v[6:7], v[8:9], v[6:7]
	v_add_f64 v[50:51], v[54:55], v[50:51]
	v_mul_lo_u32 v54, s3, v78
	v_mul_lo_u32 v55, s2, v79
	v_fma_f64 v[14:15], v[114:115], s[26:27], v[12:13]
	v_fma_f64 v[8:9], v[114:115], s[16:17], v[12:13]
	v_mul_f64 v[12:13], v[36:37], s[14:15]
	v_add_f64 v[50:51], v[58:59], v[50:51]
	v_add_f64 v[0:1], v[14:15], v[0:1]
	v_mul_f64 v[14:15], v[132:133], s[16:17]
	v_add_f64 v[4:5], v[8:9], v[4:5]
	v_add_f64 v[50:51], v[62:63], v[50:51]
	v_fma_f64 v[16:17], v[112:113], s[14:15], v[14:15]
	v_fma_f64 v[8:9], v[112:113], s[14:15], -v[14:15]
	v_mul_f64 v[14:15], v[38:39], s[30:31]
	v_add_f64 v[50:51], v[66:67], v[50:51]
	v_add_f64 v[2:3], v[16:17], v[2:3]
	v_mul_f64 v[16:17], v[134:135], s[18:19]
	v_add_f64 v[6:7], v[8:9], v[6:7]
	v_add_f64 v[50:51], v[84:85], v[50:51]
	v_fma_f64 v[18:19], v[110:111], s[22:23], v[16:17]
	v_fma_f64 v[8:9], v[110:111], s[40:41], v[16:17]
	v_mul_f64 v[16:17], v[126:127], s[16:17]
	v_add_f64 v[50:51], v[96:97], v[50:51]
	v_add_f64 v[0:1], v[18:19], v[0:1]
	v_mul_f64 v[18:19], v[136:137], s[40:41]
	v_add_f64 v[4:5], v[8:9], v[4:5]
	v_fma_f64 v[20:21], v[116:117], s[18:19], v[18:19]
	v_fma_f64 v[8:9], v[116:117], s[18:19], -v[18:19]
	v_mul_f64 v[18:19], v[128:129], s[38:39]
	v_add_f64 v[2:3], v[20:21], v[2:3]
	v_mul_f64 v[20:21], v[138:139], s[20:21]
	v_add_f64 v[6:7], v[8:9], v[6:7]
	v_fma_f64 v[22:23], v[118:119], s[36:37], v[20:21]
	v_fma_f64 v[8:9], v[118:119], s[24:25], v[20:21]
	v_fma_f64 v[20:21], v[108:109], s[30:31], v[18:19]
	v_add_f64 v[0:1], v[22:23], v[0:1]
	v_mul_f64 v[22:23], v[140:141], s[24:25]
	v_add_f64 v[4:5], v[8:9], v[4:5]
	v_fma_f64 v[8:9], v[120:121], s[20:21], -v[22:23]
	v_fma_f64 v[24:25], v[120:121], s[20:21], v[22:23]
	v_add_f64 v[8:9], v[8:9], v[6:7]
	v_fma_f64 v[6:7], v[122:123], s[38:39], v[26:27]
	v_add_f64 v[24:25], v[24:25], v[2:3]
	;; [unrolled: 2-line block ×3, first 2 shown]
	v_add_f64 v[4:5], v[10:11], v[8:9]
	v_fma_f64 v[8:9], v[44:45], s[26:27], v[12:13]
	v_fma_f64 v[10:11], v[46:47], s[34:35], v[14:15]
	v_add_f64 v[2:3], v[2:3], v[0:1]
	v_fma_f64 v[0:1], v[124:125], s[30:31], v[28:29]
	v_fma_f64 v[12:13], v[44:45], s[16:17], v[12:13]
	;; [unrolled: 1-line block ×3, first 2 shown]
	v_add_f64 v[8:9], v[104:105], v[8:9]
	v_add_f64 v[0:1], v[0:1], v[24:25]
	;; [unrolled: 1-line block ×4, first 2 shown]
	v_fma_f64 v[10:11], v[106:107], s[14:15], v[16:17]
	v_add_f64 v[12:13], v[14:15], v[12:13]
	v_fma_f64 v[14:15], v[106:107], s[14:15], -v[16:17]
	v_fma_f64 v[16:17], v[108:109], s[30:31], -v[18:19]
	;; [unrolled: 1-line block ×3, first 2 shown]
	v_add_f64 v[10:11], v[48:49], v[10:11]
	v_add_f64 v[14:15], v[48:49], v[14:15]
	;; [unrolled: 1-line block ×3, first 2 shown]
	v_mul_f64 v[20:21], v[130:131], s[18:19]
	v_add_f64 v[14:15], v[16:17], v[14:15]
	v_fma_f64 v[22:23], v[114:115], s[40:41], v[20:21]
	v_fma_f64 v[16:17], v[114:115], s[22:23], v[20:21]
	v_mul_f64 v[20:21], v[36:37], s[20:21]
	v_add_f64 v[8:9], v[22:23], v[8:9]
	v_mul_f64 v[22:23], v[132:133], s[22:23]
	v_add_f64 v[12:13], v[16:17], v[12:13]
	v_fma_f64 v[24:25], v[112:113], s[18:19], v[22:23]
	v_fma_f64 v[16:17], v[112:113], s[18:19], -v[22:23]
	v_mul_f64 v[22:23], v[38:39], s[14:15]
	v_add_f64 v[10:11], v[24:25], v[10:11]
	v_mul_f64 v[24:25], v[134:135], s[0:1]
	v_add_f64 v[14:15], v[16:17], v[14:15]
	v_fma_f64 v[26:27], v[110:111], s[12:13], v[24:25]
	v_fma_f64 v[16:17], v[110:111], s[8:9], v[24:25]
	v_mul_f64 v[24:25], v[126:127], s[24:25]
	v_add_f64 v[8:9], v[26:27], v[8:9]
	v_mul_f64 v[26:27], v[136:137], s[8:9]
	v_add_f64 v[12:13], v[16:17], v[12:13]
	v_fma_f64 v[28:29], v[116:117], s[0:1], v[26:27]
	v_fma_f64 v[16:17], v[116:117], s[0:1], -v[26:27]
	v_mul_f64 v[26:27], v[128:129], s[26:27]
	v_add_f64 v[10:11], v[28:29], v[10:11]
	v_mul_f64 v[28:29], v[138:139], s[4:5]
	v_add_f64 v[14:15], v[16:17], v[14:15]
	v_fma_f64 v[30:31], v[118:119], s[6:7], v[28:29]
	v_fma_f64 v[16:17], v[118:119], s[28:29], v[28:29]
	;; [unrolled: 1-line block ×3, first 2 shown]
	v_add_f64 v[8:9], v[30:31], v[8:9]
	v_mul_f64 v[30:31], v[140:141], s[28:29]
	v_add_f64 v[12:13], v[16:17], v[12:13]
	v_fma_f64 v[16:17], v[120:121], s[4:5], -v[30:31]
	v_fma_f64 v[32:33], v[120:121], s[4:5], v[30:31]
	v_add_f64 v[16:17], v[16:17], v[14:15]
	v_fma_f64 v[14:15], v[122:123], s[24:25], v[34:35]
	v_add_f64 v[32:33], v[32:33], v[10:11]
	;; [unrolled: 2-line block ×3, first 2 shown]
	v_add_f64 v[12:13], v[18:19], v[16:17]
	v_fma_f64 v[16:17], v[44:45], s[36:37], v[20:21]
	v_fma_f64 v[18:19], v[46:47], s[16:17], v[22:23]
	v_add_f64 v[10:11], v[10:11], v[8:9]
	v_fma_f64 v[8:9], v[124:125], s[20:21], v[40:41]
	v_fma_f64 v[20:21], v[44:45], s[24:25], v[20:21]
	;; [unrolled: 1-line block ×3, first 2 shown]
	v_add_f64 v[16:17], v[104:105], v[16:17]
	v_add_f64 v[8:9], v[8:9], v[32:33]
	;; [unrolled: 1-line block ×4, first 2 shown]
	v_fma_f64 v[18:19], v[106:107], s[20:21], v[24:25]
	v_add_f64 v[20:21], v[22:23], v[20:21]
	v_fma_f64 v[22:23], v[106:107], s[20:21], -v[24:25]
	v_fma_f64 v[24:25], v[108:109], s[14:15], -v[26:27]
	v_fma_f64 v[26:27], v[124:125], s[18:19], -v[150:151]
	v_add_f64 v[18:19], v[48:49], v[18:19]
	v_add_f64 v[22:23], v[48:49], v[22:23]
	;; [unrolled: 1-line block ×3, first 2 shown]
	v_mul_f64 v[28:29], v[130:131], s[4:5]
	v_add_f64 v[22:23], v[24:25], v[22:23]
	v_fma_f64 v[30:31], v[114:115], s[6:7], v[28:29]
	v_fma_f64 v[24:25], v[114:115], s[28:29], v[28:29]
	v_mul_f64 v[28:29], v[36:37], s[30:31]
	v_add_f64 v[16:17], v[30:31], v[16:17]
	v_mul_f64 v[30:31], v[132:133], s[28:29]
	v_add_f64 v[20:21], v[24:25], v[20:21]
	v_fma_f64 v[32:33], v[112:113], s[4:5], v[30:31]
	v_fma_f64 v[24:25], v[112:113], s[4:5], -v[30:31]
	v_mul_f64 v[30:31], v[38:39], s[0:1]
	v_add_f64 v[18:19], v[32:33], v[18:19]
	v_mul_f64 v[32:33], v[134:135], s[30:31]
	v_add_f64 v[22:23], v[24:25], v[22:23]
	v_fma_f64 v[34:35], v[110:111], s[38:39], v[32:33]
	v_fma_f64 v[24:25], v[110:111], s[34:35], v[32:33]
	v_mul_f64 v[32:33], v[126:127], s[34:35]
	v_add_f64 v[16:17], v[34:35], v[16:17]
	v_mul_f64 v[34:35], v[136:137], s[34:35]
	v_add_f64 v[20:21], v[24:25], v[20:21]
	v_fma_f64 v[40:41], v[116:117], s[30:31], v[34:35]
	v_fma_f64 v[24:25], v[116:117], s[30:31], -v[34:35]
	v_mul_f64 v[34:35], v[128:129], s[12:13]
	v_add_f64 v[18:19], v[40:41], v[18:19]
	v_mul_f64 v[40:41], v[138:139], s[0:1]
	v_add_f64 v[22:23], v[24:25], v[22:23]
	v_fma_f64 v[42:43], v[118:119], s[12:13], v[40:41]
	v_fma_f64 v[24:25], v[118:119], s[8:9], v[40:41]
	;; [unrolled: 1-line block ×3, first 2 shown]
	v_add_f64 v[16:17], v[42:43], v[16:17]
	v_mul_f64 v[42:43], v[140:141], s[8:9]
	v_add_f64 v[20:21], v[24:25], v[20:21]
	v_fma_f64 v[24:25], v[120:121], s[0:1], -v[42:43]
	v_fma_f64 v[146:147], v[120:121], s[0:1], v[42:43]
	v_add_f64 v[24:25], v[24:25], v[22:23]
	v_fma_f64 v[22:23], v[122:123], s[40:41], v[148:149]
	v_add_f64 v[146:147], v[146:147], v[18:19]
	v_fma_f64 v[18:19], v[122:123], s[22:23], v[148:149]
	v_add_f64 v[22:23], v[22:23], v[20:21]
	v_add_f64 v[20:21], v[26:27], v[24:25]
	v_fma_f64 v[24:25], v[44:45], s[38:39], v[28:29]
	v_fma_f64 v[26:27], v[46:47], s[8:9], v[30:31]
	v_add_f64 v[18:19], v[18:19], v[16:17]
	v_fma_f64 v[16:17], v[124:125], s[18:19], v[150:151]
	v_fma_f64 v[28:29], v[44:45], s[34:35], v[28:29]
	;; [unrolled: 1-line block ×3, first 2 shown]
	v_add_f64 v[24:25], v[104:105], v[24:25]
	v_add_f64 v[16:17], v[16:17], v[146:147]
	;; [unrolled: 1-line block ×4, first 2 shown]
	v_fma_f64 v[26:27], v[106:107], s[30:31], v[32:33]
	v_add_f64 v[28:29], v[30:31], v[28:29]
	v_fma_f64 v[30:31], v[106:107], s[30:31], -v[32:33]
	v_fma_f64 v[32:33], v[108:109], s[0:1], -v[34:35]
	v_add_f64 v[26:27], v[48:49], v[26:27]
	v_add_f64 v[30:31], v[48:49], v[30:31]
	;; [unrolled: 1-line block ×3, first 2 shown]
	v_mul_f64 v[40:41], v[130:131], s[20:21]
	v_add_f64 v[30:31], v[32:33], v[30:31]
	v_fma_f64 v[42:43], v[114:115], s[24:25], v[40:41]
	v_fma_f64 v[32:33], v[114:115], s[36:37], v[40:41]
	v_fma_f64 v[40:41], v[124:125], s[14:15], -v[158:159]
	v_add_f64 v[24:25], v[42:43], v[24:25]
	v_mul_f64 v[42:43], v[132:133], s[36:37]
	v_add_f64 v[28:29], v[32:33], v[28:29]
	v_fma_f64 v[146:147], v[112:113], s[20:21], v[42:43]
	v_fma_f64 v[32:33], v[112:113], s[20:21], -v[42:43]
	v_mul_f64 v[42:43], v[38:39], s[20:21]
	v_add_f64 v[26:27], v[146:147], v[26:27]
	v_mul_f64 v[146:147], v[134:135], s[4:5]
	v_add_f64 v[30:31], v[32:33], v[30:31]
	v_fma_f64 v[148:149], v[110:111], s[6:7], v[146:147]
	v_fma_f64 v[32:33], v[110:111], s[28:29], v[146:147]
	v_mul_f64 v[146:147], v[126:127], s[22:23]
	v_mul_f64 v[126:127], v[126:127], s[6:7]
	v_add_f64 v[24:25], v[148:149], v[24:25]
	v_mul_f64 v[148:149], v[136:137], s[28:29]
	v_add_f64 v[28:29], v[32:33], v[28:29]
	v_fma_f64 v[150:151], v[116:117], s[4:5], v[148:149]
	v_fma_f64 v[32:33], v[116:117], s[4:5], -v[148:149]
	v_mul_f64 v[148:149], v[128:129], s[24:25]
	v_mul_f64 v[128:129], v[128:129], s[22:23]
	v_add_f64 v[26:27], v[150:151], v[26:27]
	v_mul_f64 v[150:151], v[138:139], s[18:19]
	v_add_f64 v[30:31], v[32:33], v[30:31]
	v_fma_f64 v[152:153], v[118:119], s[40:41], v[150:151]
	v_fma_f64 v[32:33], v[118:119], s[22:23], v[150:151]
	;; [unrolled: 1-line block ×3, first 2 shown]
	v_add_f64 v[24:25], v[152:153], v[24:25]
	v_mul_f64 v[152:153], v[140:141], s[22:23]
	v_add_f64 v[28:29], v[32:33], v[28:29]
	v_fma_f64 v[32:33], v[120:121], s[18:19], -v[152:153]
	v_fma_f64 v[154:155], v[120:121], s[18:19], v[152:153]
	v_add_f64 v[30:31], v[32:33], v[30:31]
	v_fma_f64 v[32:33], v[122:123], s[16:17], v[156:157]
	v_add_f64 v[154:155], v[154:155], v[26:27]
	;; [unrolled: 2-line block ×3, first 2 shown]
	v_add_f64 v[32:33], v[40:41], v[30:31]
	v_mul_f64 v[40:41], v[36:37], s[18:19]
	v_fma_f64 v[30:31], v[46:47], s[36:37], v[42:43]
	v_add_f64 v[26:27], v[26:27], v[24:25]
	v_fma_f64 v[24:25], v[124:125], s[14:15], v[158:159]
	v_fma_f64 v[42:43], v[46:47], s[24:25], v[42:43]
	;; [unrolled: 1-line block ×4, first 2 shown]
	v_add_f64 v[24:25], v[24:25], v[154:155]
	v_add_f64 v[28:29], v[104:105], v[28:29]
	v_add_f64 v[40:41], v[104:105], v[40:41]
	v_add_f64 v[28:29], v[30:31], v[28:29]
	v_fma_f64 v[30:31], v[106:107], s[18:19], v[146:147]
	v_add_f64 v[40:41], v[42:43], v[40:41]
	v_fma_f64 v[42:43], v[106:107], s[18:19], -v[146:147]
	v_fma_f64 v[146:147], v[108:109], s[20:21], -v[148:149]
	;; [unrolled: 1-line block ×3, first 2 shown]
	v_add_f64 v[30:31], v[48:49], v[30:31]
	v_add_f64 v[42:43], v[48:49], v[42:43]
	;; [unrolled: 1-line block ×3, first 2 shown]
	v_mul_f64 v[150:151], v[130:131], s[0:1]
	v_add_f64 v[42:43], v[146:147], v[42:43]
	v_mul_f64 v[130:131], v[130:131], s[30:31]
	v_fma_f64 v[152:153], v[114:115], s[8:9], v[150:151]
	v_fma_f64 v[146:147], v[114:115], s[12:13], v[150:151]
	;; [unrolled: 1-line block ×3, first 2 shown]
	v_fma_f64 v[108:109], v[108:109], s[18:19], -v[128:129]
	v_add_f64 v[28:29], v[152:153], v[28:29]
	v_mul_f64 v[152:153], v[132:133], s[12:13]
	v_add_f64 v[40:41], v[146:147], v[40:41]
	v_mul_f64 v[132:133], v[132:133], s[34:35]
	v_fma_f64 v[154:155], v[112:113], s[0:1], v[152:153]
	v_fma_f64 v[146:147], v[112:113], s[0:1], -v[152:153]
	v_add_f64 v[30:31], v[154:155], v[30:31]
	v_mul_f64 v[154:155], v[134:135], s[14:15]
	v_add_f64 v[42:43], v[146:147], v[42:43]
	v_mul_f64 v[134:135], v[134:135], s[20:21]
	v_fma_f64 v[156:157], v[110:111], s[16:17], v[154:155]
	v_fma_f64 v[146:147], v[110:111], s[26:27], v[154:155]
	v_add_f64 v[28:29], v[156:157], v[28:29]
	v_mul_f64 v[156:157], v[136:137], s[26:27]
	v_add_f64 v[40:41], v[146:147], v[40:41]
	v_mul_f64 v[136:137], v[136:137], s[24:25]
	v_fma_f64 v[158:159], v[116:117], s[14:15], v[156:157]
	v_fma_f64 v[146:147], v[116:117], s[14:15], -v[156:157]
	v_add_f64 v[30:31], v[158:159], v[30:31]
	v_mul_f64 v[158:159], v[138:139], s[30:31]
	v_add_f64 v[42:43], v[146:147], v[42:43]
	v_mul_f64 v[138:139], v[138:139], s[14:15]
	v_fma_f64 v[160:161], v[118:119], s[34:35], v[158:159]
	v_fma_f64 v[146:147], v[118:119], s[38:39], v[158:159]
	v_add_f64 v[28:29], v[160:161], v[28:29]
	v_mul_f64 v[160:161], v[140:141], s[38:39]
	v_add_f64 v[40:41], v[146:147], v[40:41]
	v_mul_f64 v[140:141], v[140:141], s[16:17]
	v_fma_f64 v[146:147], v[120:121], s[30:31], -v[160:161]
	v_fma_f64 v[162:163], v[120:121], s[30:31], v[160:161]
	v_add_f64 v[146:147], v[146:147], v[42:43]
	v_fma_f64 v[42:43], v[122:123], s[28:29], v[164:165]
	v_add_f64 v[162:163], v[162:163], v[30:31]
	;; [unrolled: 2-line block ×3, first 2 shown]
	v_add_f64 v[40:41], v[148:149], v[146:147]
	v_mul_f64 v[146:147], v[36:37], s[4:5]
	v_mul_f64 v[148:149], v[38:39], s[18:19]
	v_add_f64 v[30:31], v[30:31], v[28:29]
	v_fma_f64 v[28:29], v[124:125], s[4:5], v[166:167]
	v_fma_f64 v[36:37], v[44:45], s[28:29], v[146:147]
	;; [unrolled: 1-line block ×5, first 2 shown]
	v_add_f64 v[28:29], v[28:29], v[162:163]
	v_add_f64 v[36:37], v[104:105], v[36:37]
	;; [unrolled: 1-line block ×4, first 2 shown]
	v_fma_f64 v[38:39], v[106:107], s[4:5], v[126:127]
	v_fma_f64 v[106:107], v[106:107], s[4:5], -v[126:127]
	v_add_f64 v[44:45], v[46:47], v[44:45]
	v_add_f64 v[38:39], v[48:49], v[38:39]
	;; [unrolled: 1-line block ×4, first 2 shown]
	v_fma_f64 v[106:107], v[110:111], s[24:25], v[134:135]
	v_add_f64 v[38:39], v[150:151], v[38:39]
	v_fma_f64 v[150:151], v[114:115], s[38:39], v[130:131]
	v_add_f64 v[48:49], v[90:91], v[48:49]
	;; [unrolled: 2-line block ×3, first 2 shown]
	v_fma_f64 v[108:109], v[116:117], s[20:21], -v[136:137]
	v_add_f64 v[36:37], v[150:151], v[36:37]
	v_add_f64 v[48:49], v[82:83], v[48:49]
	v_fma_f64 v[150:151], v[112:113], s[30:31], v[132:133]
	v_fma_f64 v[112:113], v[112:113], s[30:31], -v[132:133]
	v_add_f64 v[44:45], v[114:115], v[44:45]
	v_add_f64 v[48:49], v[72:73], v[48:49]
	;; [unrolled: 1-line block ×3, first 2 shown]
	v_fma_f64 v[150:151], v[110:111], s[36:37], v[134:135]
	v_add_f64 v[46:47], v[112:113], v[46:47]
	v_fma_f64 v[110:111], v[118:119], s[16:17], v[138:139]
	v_fma_f64 v[112:113], v[120:121], s[14:15], -v[140:141]
	v_add_f64 v[44:45], v[106:107], v[44:45]
	v_fma_f64 v[106:107], v[122:123], s[12:13], v[142:143]
	v_add_f64 v[48:49], v[102:103], v[48:49]
	v_add_f64 v[36:37], v[150:151], v[36:37]
	v_fma_f64 v[150:151], v[116:117], s[20:21], v[136:137]
	v_add_f64 v[46:47], v[108:109], v[46:47]
	v_fma_f64 v[108:109], v[124:125], s[0:1], -v[144:145]
	v_add_f64 v[44:45], v[110:111], v[44:45]
	v_add_f64 v[48:49], v[52:53], v[48:49]
	v_mad_u64_u32 v[52:53], null, s2, v78, 0
	v_add_f64 v[38:39], v[150:151], v[38:39]
	v_fma_f64 v[150:151], v[118:119], s[26:27], v[138:139]
	v_add_f64 v[110:111], v[112:113], v[46:47]
	v_add_f64 v[46:47], v[106:107], v[44:45]
	v_add3_u32 v53, v53, v55, v54
	v_lshlrev_b64 v[52:53], 4, v[52:53]
	v_add_co_u32 v54, vcc_lo, s10, v52
	v_add_f64 v[48:49], v[56:57], v[48:49]
	v_add_co_ci_u32_e32 v55, vcc_lo, s11, v53, vcc_lo
	v_lshlrev_b64 v[52:53], 4, v[76:77]
	v_add_f64 v[36:37], v[150:151], v[36:37]
	v_fma_f64 v[150:151], v[120:121], s[14:15], v[140:141]
	v_add_f64 v[44:45], v[108:109], v[110:111]
	v_add_co_u32 v54, vcc_lo, v54, v52
	v_add_co_ci_u32_e32 v55, vcc_lo, v55, v53, vcc_lo
	v_lshlrev_b64 v[52:53], 4, v[80:81]
	v_add_co_u32 v52, vcc_lo, v54, v52
	v_add_co_ci_u32_e32 v53, vcc_lo, v55, v53, vcc_lo
	v_add_f64 v[48:49], v[60:61], v[48:49]
	global_store_dwordx4 v[52:53], v[44:47], off offset:416
	global_store_dwordx4 v[52:53], v[40:43], off offset:832
	;; [unrolled: 1-line block ×3, first 2 shown]
	v_add_f64 v[150:151], v[150:151], v[38:39]
	v_fma_f64 v[38:39], v[122:123], s[8:9], v[142:143]
	v_add_co_u32 v32, vcc_lo, 0x800, v52
	v_add_co_ci_u32_e32 v33, vcc_lo, 0, v53, vcc_lo
	global_store_dwordx4 v[52:53], v[20:23], off offset:1664
	v_add_co_u32 v20, vcc_lo, 0x1000, v52
	v_add_co_ci_u32_e32 v21, vcc_lo, 0, v53, vcc_lo
	v_add_f64 v[48:49], v[64:65], v[48:49]
	v_add_f64 v[38:39], v[38:39], v[36:37]
	v_fma_f64 v[36:37], v[124:125], s[0:1], v[144:145]
	v_add_f64 v[48:49], v[68:69], v[48:49]
	v_add_f64 v[36:37], v[36:37], v[150:151]
	;; [unrolled: 1-line block ×4, first 2 shown]
	global_store_dwordx4 v[32:33], v[12:15], off offset:32
	global_store_dwordx4 v[32:33], v[4:7], off offset:448
	global_store_dwordx4 v[32:33], v[0:3], off offset:864
	global_store_dwordx4 v[32:33], v[8:11], off offset:1280
	global_store_dwordx4 v[32:33], v[16:19], off offset:1696
	global_store_dwordx4 v[20:21], v[24:27], off offset:64
	global_store_dwordx4 v[20:21], v[28:31], off offset:480
	global_store_dwordx4 v[52:53], v[48:51], off
	global_store_dwordx4 v[20:21], v[36:39], off offset:896
.LBB0_23:
	s_endpgm
	.section	.rodata,"a",@progbits
	.p2align	6, 0x0
	.amdhsa_kernel fft_rtc_fwd_len338_factors_13_2_13_wgs_52_tpt_26_halfLds_dp_op_CI_CI_unitstride_sbrr_dirReg
		.amdhsa_group_segment_fixed_size 0
		.amdhsa_private_segment_fixed_size 0
		.amdhsa_kernarg_size 104
		.amdhsa_user_sgpr_count 6
		.amdhsa_user_sgpr_private_segment_buffer 1
		.amdhsa_user_sgpr_dispatch_ptr 0
		.amdhsa_user_sgpr_queue_ptr 0
		.amdhsa_user_sgpr_kernarg_segment_ptr 1
		.amdhsa_user_sgpr_dispatch_id 0
		.amdhsa_user_sgpr_flat_scratch_init 0
		.amdhsa_user_sgpr_private_segment_size 0
		.amdhsa_wavefront_size32 1
		.amdhsa_uses_dynamic_stack 0
		.amdhsa_system_sgpr_private_segment_wavefront_offset 0
		.amdhsa_system_sgpr_workgroup_id_x 1
		.amdhsa_system_sgpr_workgroup_id_y 0
		.amdhsa_system_sgpr_workgroup_id_z 0
		.amdhsa_system_sgpr_workgroup_info 0
		.amdhsa_system_vgpr_workitem_id 0
		.amdhsa_next_free_vgpr 178
		.amdhsa_next_free_sgpr 46
		.amdhsa_reserve_vcc 1
		.amdhsa_reserve_flat_scratch 0
		.amdhsa_float_round_mode_32 0
		.amdhsa_float_round_mode_16_64 0
		.amdhsa_float_denorm_mode_32 3
		.amdhsa_float_denorm_mode_16_64 3
		.amdhsa_dx10_clamp 1
		.amdhsa_ieee_mode 1
		.amdhsa_fp16_overflow 0
		.amdhsa_workgroup_processor_mode 1
		.amdhsa_memory_ordered 1
		.amdhsa_forward_progress 0
		.amdhsa_shared_vgpr_count 0
		.amdhsa_exception_fp_ieee_invalid_op 0
		.amdhsa_exception_fp_denorm_src 0
		.amdhsa_exception_fp_ieee_div_zero 0
		.amdhsa_exception_fp_ieee_overflow 0
		.amdhsa_exception_fp_ieee_underflow 0
		.amdhsa_exception_fp_ieee_inexact 0
		.amdhsa_exception_int_div_zero 0
	.end_amdhsa_kernel
	.text
.Lfunc_end0:
	.size	fft_rtc_fwd_len338_factors_13_2_13_wgs_52_tpt_26_halfLds_dp_op_CI_CI_unitstride_sbrr_dirReg, .Lfunc_end0-fft_rtc_fwd_len338_factors_13_2_13_wgs_52_tpt_26_halfLds_dp_op_CI_CI_unitstride_sbrr_dirReg
                                        ; -- End function
	.section	.AMDGPU.csdata,"",@progbits
; Kernel info:
; codeLenInByte = 11336
; NumSgprs: 48
; NumVgprs: 178
; ScratchSize: 0
; MemoryBound: 1
; FloatMode: 240
; IeeeMode: 1
; LDSByteSize: 0 bytes/workgroup (compile time only)
; SGPRBlocks: 5
; VGPRBlocks: 22
; NumSGPRsForWavesPerEU: 48
; NumVGPRsForWavesPerEU: 178
; Occupancy: 5
; WaveLimiterHint : 1
; COMPUTE_PGM_RSRC2:SCRATCH_EN: 0
; COMPUTE_PGM_RSRC2:USER_SGPR: 6
; COMPUTE_PGM_RSRC2:TRAP_HANDLER: 0
; COMPUTE_PGM_RSRC2:TGID_X_EN: 1
; COMPUTE_PGM_RSRC2:TGID_Y_EN: 0
; COMPUTE_PGM_RSRC2:TGID_Z_EN: 0
; COMPUTE_PGM_RSRC2:TIDIG_COMP_CNT: 0
	.text
	.p2alignl 6, 3214868480
	.fill 48, 4, 3214868480
	.type	__hip_cuid_a076f145ce012792,@object ; @__hip_cuid_a076f145ce012792
	.section	.bss,"aw",@nobits
	.globl	__hip_cuid_a076f145ce012792
__hip_cuid_a076f145ce012792:
	.byte	0                               ; 0x0
	.size	__hip_cuid_a076f145ce012792, 1

	.ident	"AMD clang version 19.0.0git (https://github.com/RadeonOpenCompute/llvm-project roc-6.4.0 25133 c7fe45cf4b819c5991fe208aaa96edf142730f1d)"
	.section	".note.GNU-stack","",@progbits
	.addrsig
	.addrsig_sym __hip_cuid_a076f145ce012792
	.amdgpu_metadata
---
amdhsa.kernels:
  - .args:
      - .actual_access:  read_only
        .address_space:  global
        .offset:         0
        .size:           8
        .value_kind:     global_buffer
      - .offset:         8
        .size:           8
        .value_kind:     by_value
      - .actual_access:  read_only
        .address_space:  global
        .offset:         16
        .size:           8
        .value_kind:     global_buffer
      - .actual_access:  read_only
        .address_space:  global
        .offset:         24
        .size:           8
        .value_kind:     global_buffer
      - .actual_access:  read_only
        .address_space:  global
        .offset:         32
        .size:           8
        .value_kind:     global_buffer
      - .offset:         40
        .size:           8
        .value_kind:     by_value
      - .actual_access:  read_only
        .address_space:  global
        .offset:         48
        .size:           8
        .value_kind:     global_buffer
      - .actual_access:  read_only
        .address_space:  global
        .offset:         56
        .size:           8
        .value_kind:     global_buffer
      - .offset:         64
        .size:           4
        .value_kind:     by_value
      - .actual_access:  read_only
        .address_space:  global
        .offset:         72
        .size:           8
        .value_kind:     global_buffer
      - .actual_access:  read_only
        .address_space:  global
        .offset:         80
        .size:           8
        .value_kind:     global_buffer
      - .actual_access:  read_only
        .address_space:  global
        .offset:         88
        .size:           8
        .value_kind:     global_buffer
      - .actual_access:  write_only
        .address_space:  global
        .offset:         96
        .size:           8
        .value_kind:     global_buffer
    .group_segment_fixed_size: 0
    .kernarg_segment_align: 8
    .kernarg_segment_size: 104
    .language:       OpenCL C
    .language_version:
      - 2
      - 0
    .max_flat_workgroup_size: 52
    .name:           fft_rtc_fwd_len338_factors_13_2_13_wgs_52_tpt_26_halfLds_dp_op_CI_CI_unitstride_sbrr_dirReg
    .private_segment_fixed_size: 0
    .sgpr_count:     48
    .sgpr_spill_count: 0
    .symbol:         fft_rtc_fwd_len338_factors_13_2_13_wgs_52_tpt_26_halfLds_dp_op_CI_CI_unitstride_sbrr_dirReg.kd
    .uniform_work_group_size: 1
    .uses_dynamic_stack: false
    .vgpr_count:     178
    .vgpr_spill_count: 0
    .wavefront_size: 32
    .workgroup_processor_mode: 1
amdhsa.target:   amdgcn-amd-amdhsa--gfx1030
amdhsa.version:
  - 1
  - 2
...

	.end_amdgpu_metadata
